;; amdgpu-corpus repo=ROCm/rocFFT kind=compiled arch=gfx906 opt=O3
	.text
	.amdgcn_target "amdgcn-amd-amdhsa--gfx906"
	.amdhsa_code_object_version 6
	.protected	fft_rtc_fwd_len128_factors_16_8_wgs_256_tpt_16_sp_ip_CI_sbcc_twdbase5_3step_dirReg ; -- Begin function fft_rtc_fwd_len128_factors_16_8_wgs_256_tpt_16_sp_ip_CI_sbcc_twdbase5_3step_dirReg
	.globl	fft_rtc_fwd_len128_factors_16_8_wgs_256_tpt_16_sp_ip_CI_sbcc_twdbase5_3step_dirReg
	.p2align	8
	.type	fft_rtc_fwd_len128_factors_16_8_wgs_256_tpt_16_sp_ip_CI_sbcc_twdbase5_3step_dirReg,@function
fft_rtc_fwd_len128_factors_16_8_wgs_256_tpt_16_sp_ip_CI_sbcc_twdbase5_3step_dirReg: ; @fft_rtc_fwd_len128_factors_16_8_wgs_256_tpt_16_sp_ip_CI_sbcc_twdbase5_3step_dirReg
; %bb.0:
	s_load_dwordx8 s[8:15], s[4:5], 0x8
	s_movk_i32 s0, 0x60
	v_cmp_gt_u32_e32 vcc, s0, v0
	s_and_saveexec_b64 s[0:1], vcc
	s_cbranch_execz .LBB0_2
; %bb.1:
	v_lshlrev_b32_e32 v3, 3, v0
	s_waitcnt lgkmcnt(0)
	global_load_dwordx2 v[1:2], v3, s[8:9]
	v_add_u32_e32 v3, 0, v3
	s_waitcnt vmcnt(0)
	ds_write_b64 v3, v[1:2] offset:16384
.LBB0_2:
	s_or_b64 exec, exec, s[0:1]
	s_waitcnt lgkmcnt(0)
	s_load_dwordx2 s[22:23], s[12:13], 0x8
	s_mov_b32 s7, 0
	s_mov_b64 s[24:25], 0
	s_waitcnt lgkmcnt(0)
	s_add_u32 s0, s22, -1
	s_addc_u32 s1, s23, -1
	s_lshr_b64 s[0:1], s[0:1], 4
	s_add_u32 s2, s0, 1
	s_addc_u32 s3, s1, 0
	v_mov_b32_e32 v1, s2
	v_mov_b32_e32 v2, s3
	v_cmp_lt_u64_e32 vcc, s[6:7], v[1:2]
	s_cbranch_vccnz .LBB0_4
; %bb.3:
	v_cvt_f32_u32_e32 v1, s2
	s_sub_i32 s0, 0, s2
	s_mov_b32 s25, s7
	v_rcp_iflag_f32_e32 v1, v1
	v_mul_f32_e32 v1, 0x4f7ffffe, v1
	v_cvt_u32_f32_e32 v1, v1
	v_readfirstlane_b32 s1, v1
	s_mul_i32 s0, s0, s1
	s_mul_hi_u32 s0, s1, s0
	s_add_i32 s1, s1, s0
	s_mul_hi_u32 s0, s6, s1
	s_mul_i32 s8, s0, s2
	s_sub_i32 s8, s6, s8
	s_add_i32 s1, s0, 1
	s_sub_i32 s9, s8, s2
	s_cmp_ge_u32 s8, s2
	s_cselect_b32 s0, s1, s0
	s_cselect_b32 s8, s9, s8
	s_add_i32 s1, s0, 1
	s_cmp_ge_u32 s8, s2
	s_cselect_b32 s24, s1, s0
.LBB0_4:
	s_load_dwordx4 s[16:19], s[14:15], 0x0
	s_mul_i32 s0, s24, s3
	s_mul_hi_u32 s1, s24, s2
	s_add_i32 s1, s1, s0
	s_mul_i32 s0, s24, s2
	s_sub_u32 s0, s6, s0
	s_subb_u32 s1, 0, s1
	v_mov_b32_e32 v1, s0
	v_alignbit_b32 v1, s1, v1, 28
	s_waitcnt lgkmcnt(0)
	v_mul_lo_u32 v1, s18, v1
	s_load_dwordx2 s[8:9], s[4:5], 0x58
	s_load_dwordx2 s[20:21], s[4:5], 0x0
	s_lshl_b64 s[4:5], s[0:1], 4
	s_mul_hi_u32 s0, s18, s4
	v_add_u32_e32 v1, s0, v1
	s_mul_i32 s0, s19, s4
	v_add_u32_e32 v3, s0, v1
	v_cmp_lt_u64_e64 s[0:1], s[10:11], 3
	s_mul_i32 s26, s18, s4
	v_mov_b32_e32 v4, s26
	s_and_b64 vcc, exec, s[0:1]
	s_cbranch_vccnz .LBB0_13
; %bb.5:
	s_add_u32 s26, s14, 16
	s_addc_u32 s27, s15, 0
	s_add_u32 s12, s12, 16
	v_mov_b32_e32 v1, s10
	s_addc_u32 s13, s13, 0
	s_mov_b64 s[28:29], 2
	s_mov_b32 s30, 0
	v_mov_b32_e32 v2, s11
	s_branch .LBB0_7
.LBB0_6:                                ;   in Loop: Header=BB0_7 Depth=1
	s_mul_i32 s3, s34, s3
	s_mul_hi_u32 s31, s34, s2
	s_add_i32 s3, s31, s3
	s_mul_i32 s31, s35, s2
	s_add_i32 s3, s3, s31
	s_mul_i32 s31, s0, s35
	s_mul_hi_u32 s33, s0, s34
	s_load_dwordx2 s[36:37], s[26:27], 0x0
	s_add_i32 s31, s33, s31
	s_mul_i32 s33, s1, s34
	s_add_i32 s31, s31, s33
	s_mul_i32 s33, s0, s34
	s_sub_u32 s24, s24, s33
	s_subb_u32 s25, s25, s31
	s_waitcnt lgkmcnt(0)
	s_mul_i32 s25, s36, s25
	s_mul_hi_u32 s31, s36, s24
	s_add_i32 s25, s31, s25
	s_mul_i32 s31, s37, s24
	s_add_i32 s25, s25, s31
	s_mul_i32 s24, s36, s24
	s_add_u32 s28, s28, 1
	v_mov_b32_e32 v5, s25
	v_add_co_u32_e32 v4, vcc, s24, v4
	s_addc_u32 s29, s29, 0
	v_addc_co_u32_e32 v3, vcc, v5, v3, vcc
	s_add_u32 s26, s26, 8
	s_addc_u32 s27, s27, 0
	v_cmp_ge_u64_e32 vcc, s[28:29], v[1:2]
	s_add_u32 s12, s12, 8
	s_mul_i32 s2, s34, s2
	s_addc_u32 s13, s13, 0
	s_mov_b64 s[24:25], s[0:1]
	s_cbranch_vccnz .LBB0_11
.LBB0_7:                                ; =>This Inner Loop Header: Depth=1
	s_load_dwordx2 s[34:35], s[12:13], 0x0
	s_waitcnt lgkmcnt(0)
	s_or_b64 s[0:1], s[24:25], s[34:35]
	s_mov_b32 s31, s1
	s_cmp_lg_u64 s[30:31], 0
	s_cbranch_scc0 .LBB0_9
; %bb.8:                                ;   in Loop: Header=BB0_7 Depth=1
	v_cvt_f32_u32_e32 v5, s34
	v_cvt_f32_u32_e32 v6, s35
	s_sub_u32 s0, 0, s34
	s_subb_u32 s1, 0, s35
	v_mac_f32_e32 v5, 0x4f800000, v6
	v_rcp_f32_e32 v5, v5
	v_mul_f32_e32 v5, 0x5f7ffffc, v5
	v_mul_f32_e32 v6, 0x2f800000, v5
	v_trunc_f32_e32 v6, v6
	v_mac_f32_e32 v5, 0xcf800000, v6
	v_cvt_u32_f32_e32 v6, v6
	v_cvt_u32_f32_e32 v5, v5
	v_readfirstlane_b32 s31, v6
	v_readfirstlane_b32 s33, v5
	s_mul_i32 s36, s0, s31
	s_mul_hi_u32 s38, s0, s33
	s_mul_i32 s37, s1, s33
	s_add_i32 s36, s38, s36
	s_mul_i32 s39, s0, s33
	s_add_i32 s36, s36, s37
	s_mul_hi_u32 s37, s33, s36
	s_mul_i32 s38, s33, s36
	s_mul_hi_u32 s33, s33, s39
	s_add_u32 s33, s33, s38
	s_addc_u32 s37, 0, s37
	s_mul_hi_u32 s40, s31, s39
	s_mul_i32 s39, s31, s39
	s_add_u32 s33, s33, s39
	s_mul_hi_u32 s38, s31, s36
	s_addc_u32 s33, s37, s40
	s_addc_u32 s37, s38, 0
	s_mul_i32 s36, s31, s36
	s_add_u32 s33, s33, s36
	s_addc_u32 s36, 0, s37
	v_add_co_u32_e32 v5, vcc, s33, v5
	s_cmp_lg_u64 vcc, 0
	s_addc_u32 s31, s31, s36
	v_readfirstlane_b32 s36, v5
	s_mul_i32 s33, s0, s31
	s_mul_hi_u32 s37, s0, s36
	s_add_i32 s33, s37, s33
	s_mul_i32 s1, s1, s36
	s_add_i32 s33, s33, s1
	s_mul_i32 s0, s0, s36
	s_mul_hi_u32 s37, s31, s0
	s_mul_i32 s38, s31, s0
	s_mul_i32 s40, s36, s33
	s_mul_hi_u32 s0, s36, s0
	s_mul_hi_u32 s39, s36, s33
	s_add_u32 s0, s0, s40
	s_addc_u32 s36, 0, s39
	s_add_u32 s0, s0, s38
	s_mul_hi_u32 s1, s31, s33
	s_addc_u32 s0, s36, s37
	s_addc_u32 s1, s1, 0
	s_mul_i32 s33, s31, s33
	s_add_u32 s0, s0, s33
	s_addc_u32 s1, 0, s1
	v_add_co_u32_e32 v5, vcc, s0, v5
	s_cmp_lg_u64 vcc, 0
	s_addc_u32 s0, s31, s1
	v_readfirstlane_b32 s33, v5
	s_mul_i32 s31, s24, s0
	s_mul_hi_u32 s36, s24, s33
	s_mul_hi_u32 s1, s24, s0
	s_add_u32 s31, s36, s31
	s_addc_u32 s1, 0, s1
	s_mul_hi_u32 s37, s25, s33
	s_mul_i32 s33, s25, s33
	s_add_u32 s31, s31, s33
	s_mul_hi_u32 s36, s25, s0
	s_addc_u32 s1, s1, s37
	s_addc_u32 s31, s36, 0
	s_mul_i32 s0, s25, s0
	s_add_u32 s33, s1, s0
	s_addc_u32 s31, 0, s31
	s_mul_i32 s0, s34, s31
	s_mul_hi_u32 s1, s34, s33
	s_add_i32 s0, s1, s0
	s_mul_i32 s1, s35, s33
	s_add_i32 s36, s0, s1
	s_mul_i32 s1, s34, s33
	v_mov_b32_e32 v5, s1
	s_sub_i32 s0, s25, s36
	v_sub_co_u32_e32 v5, vcc, s24, v5
	s_cmp_lg_u64 vcc, 0
	s_subb_u32 s37, s0, s35
	v_subrev_co_u32_e64 v6, s[0:1], s34, v5
	s_cmp_lg_u64 s[0:1], 0
	s_subb_u32 s0, s37, 0
	s_cmp_ge_u32 s0, s35
	v_readfirstlane_b32 s37, v6
	s_cselect_b32 s1, -1, 0
	s_cmp_ge_u32 s37, s34
	s_cselect_b32 s37, -1, 0
	s_cmp_eq_u32 s0, s35
	s_cselect_b32 s0, s37, s1
	s_add_u32 s1, s33, 1
	s_addc_u32 s37, s31, 0
	s_add_u32 s38, s33, 2
	s_addc_u32 s39, s31, 0
	s_cmp_lg_u32 s0, 0
	s_cselect_b32 s0, s38, s1
	s_cselect_b32 s1, s39, s37
	s_cmp_lg_u64 vcc, 0
	s_subb_u32 s36, s25, s36
	s_cmp_ge_u32 s36, s35
	v_readfirstlane_b32 s38, v5
	s_cselect_b32 s37, -1, 0
	s_cmp_ge_u32 s38, s34
	s_cselect_b32 s38, -1, 0
	s_cmp_eq_u32 s36, s35
	s_cselect_b32 s36, s38, s37
	s_cmp_lg_u32 s36, 0
	s_cselect_b32 s1, s1, s31
	s_cselect_b32 s0, s0, s33
	s_cbranch_execnz .LBB0_6
	s_branch .LBB0_10
.LBB0_9:                                ;   in Loop: Header=BB0_7 Depth=1
                                        ; implicit-def: $sgpr0_sgpr1
.LBB0_10:                               ;   in Loop: Header=BB0_7 Depth=1
	v_cvt_f32_u32_e32 v5, s34
	s_sub_i32 s0, 0, s34
	v_rcp_iflag_f32_e32 v5, v5
	v_mul_f32_e32 v5, 0x4f7ffffe, v5
	v_cvt_u32_f32_e32 v5, v5
	v_readfirstlane_b32 s1, v5
	s_mul_i32 s0, s0, s1
	s_mul_hi_u32 s0, s1, s0
	s_add_i32 s1, s1, s0
	s_mul_hi_u32 s0, s24, s1
	s_mul_i32 s31, s0, s34
	s_sub_i32 s31, s24, s31
	s_add_i32 s1, s0, 1
	s_sub_i32 s33, s31, s34
	s_cmp_ge_u32 s31, s34
	s_cselect_b32 s0, s1, s0
	s_cselect_b32 s31, s33, s31
	s_add_i32 s1, s0, 1
	s_cmp_ge_u32 s31, s34
	s_cselect_b32 s0, s1, s0
	s_mov_b32 s1, s30
	s_branch .LBB0_6
.LBB0_11:
	v_mov_b32_e32 v1, s2
	v_mov_b32_e32 v2, s3
	v_cmp_lt_u64_e32 vcc, s[6:7], v[1:2]
	s_mov_b64 s[24:25], 0
	s_cbranch_vccnz .LBB0_13
; %bb.12:
	v_cvt_f32_u32_e32 v1, s2
	s_sub_i32 s0, 0, s2
	v_rcp_iflag_f32_e32 v1, v1
	v_mul_f32_e32 v1, 0x4f7ffffe, v1
	v_cvt_u32_f32_e32 v1, v1
	v_readfirstlane_b32 s1, v1
	s_mul_i32 s0, s0, s1
	s_mul_hi_u32 s0, s1, s0
	s_add_i32 s1, s1, s0
	s_mul_hi_u32 s0, s6, s1
	s_mul_i32 s3, s0, s2
	s_sub_i32 s3, s6, s3
	s_add_i32 s1, s0, 1
	s_sub_i32 s6, s3, s2
	s_cmp_ge_u32 s3, s2
	s_cselect_b32 s0, s1, s0
	s_cselect_b32 s3, s6, s3
	s_add_i32 s1, s0, 1
	s_cmp_ge_u32 s3, s2
	s_cselect_b32 s24, s1, s0
.LBB0_13:
	s_lshl_b64 s[0:1], s[10:11], 3
	s_add_u32 s0, s14, s0
	s_addc_u32 s1, s15, s1
	s_load_dwordx2 s[0:1], s[0:1], 0x0
	v_and_b32_e32 v41, 15, v0
	v_lshrrev_b32_e32 v36, 4, v0
	v_or_b32_e32 v45, 8, v36
	v_or_b32_e32 v40, 16, v36
	s_waitcnt lgkmcnt(0)
	s_mul_i32 s1, s1, s24
	s_mul_hi_u32 s2, s0, s24
	s_mul_i32 s0, s0, s24
	s_add_i32 s1, s2, s1
	v_mov_b32_e32 v2, s1
	v_add_co_u32_e32 v1, vcc, s0, v4
	v_addc_co_u32_e32 v2, vcc, v2, v3, vcc
	s_add_u32 s0, s4, 16
	v_mov_b32_e32 v3, s22
	s_addc_u32 s1, s5, 0
	v_mov_b32_e32 v4, s23
	v_cmp_le_u64_e32 vcc, s[0:1], v[3:4]
	s_movk_i32 s0, 0x80
	v_cmp_gt_u32_e64 s[0:1], s0, v0
	v_lshlrev_b64 v[0:1], 3, v[1:2]
	s_and_b64 s[2:3], s[0:1], vcc
	v_or_b32_e32 v44, 24, v36
	v_or_b32_e32 v39, 32, v36
	v_or_b32_e32 v43, 40, v36
	v_or_b32_e32 v38, 48, v36
	v_or_b32_e32 v42, 56, v36
	v_or_b32_e32 v37, 64, v36
                                        ; implicit-def: $vgpr5
                                        ; implicit-def: $vgpr9
                                        ; implicit-def: $vgpr7
                                        ; implicit-def: $vgpr11
                                        ; implicit-def: $vgpr13
                                        ; implicit-def: $vgpr17
                                        ; implicit-def: $vgpr15
                                        ; implicit-def: $vgpr19
                                        ; implicit-def: $vgpr21
                                        ; implicit-def: $vgpr23
                                        ; implicit-def: $vgpr27
                                        ; implicit-def: $vgpr25
                                        ; implicit-def: $vgpr29
                                        ; implicit-def: $vgpr31
                                        ; implicit-def: $vgpr35
                                        ; implicit-def: $vgpr33
	s_and_saveexec_b64 s[6:7], s[2:3]
	s_cbranch_execz .LBB0_15
; %bb.14:
	v_mad_u64_u32 v[2:3], s[2:3], s18, v41, 0
	v_mad_u64_u32 v[4:5], s[2:3], s16, v36, 0
	;; [unrolled: 1-line block ×3, first 2 shown]
	v_mov_b32_e32 v3, v5
	v_mad_u64_u32 v[7:8], s[2:3], s17, v36, v[3:4]
	v_mov_b32_e32 v3, v6
	v_mov_b32_e32 v6, s9
	v_add_co_u32_e64 v8, s[2:3], s8, v0
	v_mov_b32_e32 v5, v7
	v_addc_co_u32_e64 v9, s[2:3], v6, v1, s[2:3]
	v_mad_u64_u32 v[6:7], s[2:3], s16, v45, 0
	v_lshlrev_b64 v[2:3], 3, v[2:3]
	v_add_co_u32_e64 v12, s[2:3], v8, v2
	v_addc_co_u32_e64 v13, s[2:3], v9, v3, s[2:3]
	v_lshlrev_b64 v[2:3], 3, v[4:5]
	v_mov_b32_e32 v4, v7
	v_mad_u64_u32 v[4:5], s[2:3], s17, v45, v[4:5]
	v_mad_u64_u32 v[8:9], s[2:3], s16, v40, 0
	v_mov_b32_e32 v7, v4
	v_add_co_u32_e64 v2, s[2:3], v12, v2
	v_lshlrev_b64 v[4:5], 3, v[6:7]
	v_mov_b32_e32 v6, v9
	v_addc_co_u32_e64 v3, s[2:3], v13, v3, s[2:3]
	v_mad_u64_u32 v[6:7], s[2:3], s17, v40, v[6:7]
	v_mad_u64_u32 v[10:11], s[2:3], s16, v44, 0
	v_add_co_u32_e64 v24, s[2:3], v12, v4
	v_mov_b32_e32 v9, v6
	v_mov_b32_e32 v6, v11
	v_addc_co_u32_e64 v25, s[2:3], v13, v5, s[2:3]
	v_mad_u64_u32 v[6:7], s[2:3], s17, v44, v[6:7]
	v_lshlrev_b64 v[4:5], 3, v[8:9]
	v_mad_u64_u32 v[7:8], s[2:3], s16, v39, 0
	v_add_co_u32_e64 v26, s[2:3], v12, v4
	v_mov_b32_e32 v11, v6
	v_mov_b32_e32 v6, v8
	v_addc_co_u32_e64 v27, s[2:3], v13, v5, s[2:3]
	v_mad_u64_u32 v[8:9], s[2:3], s17, v39, v[6:7]
	v_lshlrev_b64 v[4:5], 3, v[10:11]
	v_mad_u64_u32 v[9:10], s[2:3], s16, v43, 0
	v_add_co_u32_e64 v28, s[2:3], v12, v4
	v_mov_b32_e32 v6, v10
	v_addc_co_u32_e64 v29, s[2:3], v13, v5, s[2:3]
	v_lshlrev_b64 v[4:5], 3, v[7:8]
	v_mad_u64_u32 v[6:7], s[2:3], s17, v43, v[6:7]
	v_mad_u64_u32 v[7:8], s[2:3], s16, v38, 0
	v_add_co_u32_e64 v30, s[2:3], v12, v4
	v_mov_b32_e32 v10, v6
	v_mov_b32_e32 v6, v8
	v_addc_co_u32_e64 v31, s[2:3], v13, v5, s[2:3]
	v_lshlrev_b64 v[4:5], 3, v[9:10]
	v_mad_u64_u32 v[8:9], s[2:3], s17, v38, v[6:7]
	v_mad_u64_u32 v[9:10], s[2:3], s16, v42, 0
	v_add_co_u32_e64 v32, s[2:3], v12, v4
	v_mov_b32_e32 v6, v10
	v_addc_co_u32_e64 v33, s[2:3], v13, v5, s[2:3]
	v_lshlrev_b64 v[4:5], 3, v[7:8]
	v_mad_u64_u32 v[6:7], s[2:3], s17, v42, v[6:7]
	v_mad_u64_u32 v[7:8], s[2:3], s16, v37, 0
	v_add_co_u32_e64 v34, s[2:3], v12, v4
	v_mov_b32_e32 v10, v6
	v_mov_b32_e32 v6, v8
	v_addc_co_u32_e64 v35, s[2:3], v13, v5, s[2:3]
	v_lshlrev_b64 v[4:5], 3, v[9:10]
	v_mad_u64_u32 v[8:9], s[2:3], s17, v37, v[6:7]
	v_or_b32_e32 v11, 0x48, v36
	v_mad_u64_u32 v[9:10], s[2:3], s16, v11, 0
	v_add_co_u32_e64 v46, s[2:3], v12, v4
	v_mov_b32_e32 v6, v10
	v_addc_co_u32_e64 v47, s[2:3], v13, v5, s[2:3]
	v_lshlrev_b64 v[4:5], 3, v[7:8]
	v_mad_u64_u32 v[6:7], s[2:3], s17, v11, v[6:7]
	v_or_b32_e32 v11, 0x50, v36
	v_mad_u64_u32 v[7:8], s[2:3], s16, v11, 0
	v_add_co_u32_e64 v48, s[2:3], v12, v4
	v_mov_b32_e32 v10, v6
	v_mov_b32_e32 v6, v8
	v_addc_co_u32_e64 v49, s[2:3], v13, v5, s[2:3]
	v_lshlrev_b64 v[4:5], 3, v[9:10]
	v_mad_u64_u32 v[8:9], s[2:3], s17, v11, v[6:7]
	v_or_b32_e32 v11, 0x58, v36
	v_mad_u64_u32 v[9:10], s[2:3], s16, v11, 0
	v_add_co_u32_e64 v50, s[2:3], v12, v4
	v_mov_b32_e32 v6, v10
	v_addc_co_u32_e64 v51, s[2:3], v13, v5, s[2:3]
	v_lshlrev_b64 v[4:5], 3, v[7:8]
	v_mad_u64_u32 v[6:7], s[2:3], s17, v11, v[6:7]
	v_or_b32_e32 v11, 0x60, v36
	v_mad_u64_u32 v[7:8], s[2:3], s16, v11, 0
	v_add_co_u32_e64 v52, s[2:3], v12, v4
	v_mov_b32_e32 v10, v6
	v_mov_b32_e32 v6, v8
	v_addc_co_u32_e64 v53, s[2:3], v13, v5, s[2:3]
	v_lshlrev_b64 v[4:5], 3, v[9:10]
	v_mad_u64_u32 v[8:9], s[2:3], s17, v11, v[6:7]
	v_or_b32_e32 v11, 0x68, v36
	v_mad_u64_u32 v[9:10], s[2:3], s16, v11, 0
	v_add_co_u32_e64 v54, s[2:3], v12, v4
	v_mov_b32_e32 v6, v10
	v_addc_co_u32_e64 v55, s[2:3], v13, v5, s[2:3]
	v_lshlrev_b64 v[4:5], 3, v[7:8]
	v_mad_u64_u32 v[6:7], s[2:3], s17, v11, v[6:7]
	v_or_b32_e32 v11, 0x70, v36
	v_mad_u64_u32 v[7:8], s[2:3], s16, v11, 0
	v_add_co_u32_e64 v56, s[2:3], v12, v4
	v_mov_b32_e32 v10, v6
	v_mov_b32_e32 v6, v8
	v_addc_co_u32_e64 v57, s[2:3], v13, v5, s[2:3]
	v_lshlrev_b64 v[4:5], 3, v[9:10]
	v_mad_u64_u32 v[8:9], s[2:3], s17, v11, v[6:7]
	v_or_b32_e32 v11, 0x78, v36
	v_mad_u64_u32 v[9:10], s[2:3], s16, v11, 0
	v_add_co_u32_e64 v58, s[2:3], v12, v4
	v_mov_b32_e32 v6, v10
	v_addc_co_u32_e64 v59, s[2:3], v13, v5, s[2:3]
	v_lshlrev_b64 v[4:5], 3, v[7:8]
	v_mad_u64_u32 v[6:7], s[2:3], s17, v11, v[6:7]
	v_add_co_u32_e64 v60, s[2:3], v12, v4
	v_mov_b32_e32 v10, v6
	v_addc_co_u32_e64 v61, s[2:3], v13, v5, s[2:3]
	v_lshlrev_b64 v[4:5], 3, v[9:10]
	v_add_co_u32_e64 v62, s[2:3], v12, v4
	v_addc_co_u32_e64 v63, s[2:3], v13, v5, s[2:3]
	global_load_dwordx2 v[4:5], v[2:3], off
	global_load_dwordx2 v[8:9], v[24:25], off
	;; [unrolled: 1-line block ×10, first 2 shown]
                                        ; kill: killed $vgpr46 killed $vgpr47
                                        ; kill: killed $vgpr26 killed $vgpr27
                                        ; kill: killed $vgpr50 killed $vgpr51
                                        ; kill: killed $vgpr30 killed $vgpr31
                                        ; kill: killed $vgpr34 killed $vgpr35
                                        ; kill: killed $vgpr24 killed $vgpr25
                                        ; kill: killed $vgpr48 killed $vgpr49
                                        ; kill: killed $vgpr28 killed $vgpr29
                                        ; kill: killed $vgpr32 killed $vgpr33
                                        ; kill: killed $vgpr2 killed $vgpr3
	global_load_dwordx2 v[26:27], v[52:53], off
	global_load_dwordx2 v[24:25], v[54:55], off
	;; [unrolled: 1-line block ×6, first 2 shown]
.LBB0_15:
	s_or_b64 exec, exec, s[6:7]
	v_mov_b32_e32 v3, s5
	v_or_b32_e32 v2, s4, v41
	v_cmp_gt_u64_e64 s[2:3], s[22:23], v[2:3]
	s_xor_b64 s[4:5], vcc, -1
	s_and_b64 s[6:7], s[0:1], s[2:3]
	s_and_b64 s[4:5], s[4:5], s[6:7]
	s_and_saveexec_b64 s[6:7], s[4:5]
	s_cbranch_execz .LBB0_17
; %bb.16:
	s_waitcnt vmcnt(15)
	v_mad_u64_u32 v[3:4], s[4:5], s18, v41, 0
	s_waitcnt vmcnt(13)
	v_mad_u64_u32 v[5:6], s[4:5], s16, v36, 0
	s_waitcnt vmcnt(0)
	v_or_b32_e32 v33, 0x48, v36
	v_or_b32_e32 v47, 0x68, v36
	v_mad_u64_u32 v[7:8], s[4:5], s19, v41, v[4:5]
	v_mov_b32_e32 v4, v6
	v_mad_u64_u32 v[8:9], s[4:5], s17, v36, v[4:5]
	v_mov_b32_e32 v4, v7
	v_mov_b32_e32 v7, s9
	v_add_co_u32_e64 v9, s[4:5], s8, v0
	v_mov_b32_e32 v6, v8
	v_addc_co_u32_e64 v10, s[4:5], v7, v1, s[4:5]
	v_mad_u64_u32 v[7:8], s[4:5], s16, v45, 0
	v_lshlrev_b64 v[3:4], 3, v[3:4]
	v_add_co_u32_e64 v48, s[4:5], v9, v3
	v_addc_co_u32_e64 v49, s[4:5], v10, v4, s[4:5]
	v_lshlrev_b64 v[3:4], 3, v[5:6]
	v_mov_b32_e32 v5, v8
	v_mad_u64_u32 v[5:6], s[4:5], s17, v45, v[5:6]
	v_mad_u64_u32 v[9:10], s[4:5], s16, v40, 0
	v_add_co_u32_e64 v12, s[4:5], v48, v3
	v_mov_b32_e32 v8, v5
	v_mov_b32_e32 v5, v10
	v_addc_co_u32_e64 v13, s[4:5], v49, v4, s[4:5]
	v_mad_u64_u32 v[5:6], s[4:5], s17, v40, v[5:6]
	v_lshlrev_b64 v[3:4], 3, v[7:8]
	v_mad_u64_u32 v[6:7], s[4:5], s16, v44, 0
	v_add_co_u32_e64 v14, s[4:5], v48, v3
	v_mov_b32_e32 v10, v5
	v_addc_co_u32_e64 v15, s[4:5], v49, v4, s[4:5]
	v_lshlrev_b64 v[3:4], 3, v[9:10]
	v_mov_b32_e32 v5, v7
	v_mad_u64_u32 v[7:8], s[4:5], s17, v44, v[5:6]
	v_add_co_u32_e64 v16, s[4:5], v48, v3
	v_addc_co_u32_e64 v17, s[4:5], v49, v4, s[4:5]
	v_mad_u64_u32 v[18:19], s[4:5], s16, v39, 0
	v_lshlrev_b64 v[3:4], 3, v[6:7]
	v_add_co_u32_e64 v20, s[4:5], v48, v3
	v_mov_b32_e32 v3, v19
	v_addc_co_u32_e64 v21, s[4:5], v49, v4, s[4:5]
	v_mad_u64_u32 v[3:4], s[4:5], s17, v39, v[3:4]
	global_load_dwordx2 v[4:5], v[12:13], off
	global_load_dwordx2 v[8:9], v[14:15], off
	;; [unrolled: 1-line block ×4, first 2 shown]
	v_mad_u64_u32 v[22:23], s[4:5], s16, v43, 0
	v_mov_b32_e32 v19, v3
	v_lshlrev_b64 v[12:13], 3, v[18:19]
	v_mov_b32_e32 v3, v23
	s_waitcnt vmcnt(3)
	v_mad_u64_u32 v[14:15], s[4:5], s17, v43, v[3:4]
	v_mad_u64_u32 v[15:16], s[4:5], s16, v38, 0
	v_add_co_u32_e64 v20, s[4:5], v48, v12
	v_mov_b32_e32 v3, v16
	v_addc_co_u32_e64 v21, s[4:5], v49, v13, s[4:5]
	v_mad_u64_u32 v[16:17], s[4:5], s17, v38, v[3:4]
	v_mad_u64_u32 v[17:18], s[4:5], s16, v42, 0
	v_mov_b32_e32 v23, v14
	v_lshlrev_b64 v[12:13], 3, v[22:23]
	v_mov_b32_e32 v3, v18
	v_add_co_u32_e64 v22, s[4:5], v48, v12
	v_addc_co_u32_e64 v23, s[4:5], v49, v13, s[4:5]
	v_lshlrev_b64 v[12:13], 3, v[15:16]
	v_mad_u64_u32 v[14:15], s[4:5], s17, v42, v[3:4]
	v_add_co_u32_e64 v24, s[4:5], v48, v12
	v_addc_co_u32_e64 v25, s[4:5], v49, v13, s[4:5]
	v_mad_u64_u32 v[26:27], s[4:5], s16, v37, 0
	v_mov_b32_e32 v18, v14
	v_lshlrev_b64 v[12:13], 3, v[17:18]
	v_mov_b32_e32 v3, v27
	v_add_co_u32_e64 v28, s[4:5], v48, v12
	v_addc_co_u32_e64 v29, s[4:5], v49, v13, s[4:5]
	v_mad_u64_u32 v[30:31], s[4:5], s17, v37, v[3:4]
	v_mad_u64_u32 v[31:32], s[4:5], s16, v33, 0
	global_load_dwordx2 v[12:13], v[20:21], off
	global_load_dwordx2 v[16:17], v[22:23], off
	;; [unrolled: 1-line block ×4, first 2 shown]
	v_or_b32_e32 v25, 0x50, v36
	v_mov_b32_e32 v3, v32
	v_mad_u64_u32 v[22:23], s[4:5], s17, v33, v[3:4]
	v_mad_u64_u32 v[23:24], s[4:5], s16, v25, 0
	v_mov_b32_e32 v27, v30
	v_lshlrev_b64 v[20:21], 3, v[26:27]
	v_mov_b32_e32 v3, v24
	v_add_co_u32_e64 v28, s[4:5], v48, v20
	v_addc_co_u32_e64 v29, s[4:5], v49, v21, s[4:5]
	v_mov_b32_e32 v32, v22
	v_mad_u64_u32 v[24:25], s[4:5], s17, v25, v[3:4]
	v_or_b32_e32 v22, 0x58, v36
	v_mad_u64_u32 v[25:26], s[4:5], s16, v22, 0
	v_lshlrev_b64 v[20:21], 3, v[31:32]
	v_add_co_u32_e64 v30, s[4:5], v48, v20
	v_mov_b32_e32 v3, v26
	v_addc_co_u32_e64 v31, s[4:5], v49, v21, s[4:5]
	v_lshlrev_b64 v[20:21], 3, v[23:24]
	v_mad_u64_u32 v[22:23], s[4:5], s17, v22, v[3:4]
	v_add_co_u32_e64 v32, s[4:5], v48, v20
	v_mov_b32_e32 v26, v22
	v_or_b32_e32 v22, 0x60, v36
	v_addc_co_u32_e64 v33, s[4:5], v49, v21, s[4:5]
	v_mad_u64_u32 v[34:35], s[4:5], s16, v22, 0
	v_lshlrev_b64 v[20:21], 3, v[25:26]
	v_add_co_u32_e64 v42, s[4:5], v48, v20
	v_mov_b32_e32 v3, v35
	v_addc_co_u32_e64 v43, s[4:5], v49, v21, s[4:5]
	v_mad_u64_u32 v[44:45], s[4:5], s17, v22, v[3:4]
	v_mad_u64_u32 v[45:46], s[4:5], s16, v47, 0
	global_load_dwordx2 v[20:21], v[28:29], off
	global_load_dwordx2 v[22:23], v[30:31], off
	;; [unrolled: 1-line block ×4, first 2 shown]
	v_or_b32_e32 v33, 0x70, v36
	v_mov_b32_e32 v3, v46
	v_mad_u64_u32 v[30:31], s[4:5], s17, v47, v[3:4]
	v_mad_u64_u32 v[31:32], s[4:5], s16, v33, 0
	v_mov_b32_e32 v35, v44
	v_lshlrev_b64 v[28:29], 3, v[34:35]
	v_mov_b32_e32 v3, v32
	v_add_co_u32_e64 v42, s[4:5], v48, v28
	v_addc_co_u32_e64 v43, s[4:5], v49, v29, s[4:5]
	v_mov_b32_e32 v46, v30
	v_mad_u64_u32 v[32:33], s[4:5], s17, v33, v[3:4]
	v_or_b32_e32 v30, 0x78, v36
	v_mad_u64_u32 v[33:34], s[4:5], s16, v30, 0
	v_lshlrev_b64 v[28:29], 3, v[45:46]
	v_add_co_u32_e64 v44, s[4:5], v48, v28
	v_mov_b32_e32 v3, v34
	v_addc_co_u32_e64 v45, s[4:5], v49, v29, s[4:5]
	v_lshlrev_b64 v[28:29], 3, v[31:32]
	v_mad_u64_u32 v[30:31], s[4:5], s17, v30, v[3:4]
	v_add_co_u32_e64 v46, s[4:5], v48, v28
	v_mov_b32_e32 v34, v30
	v_addc_co_u32_e64 v47, s[4:5], v49, v29, s[4:5]
	v_lshlrev_b64 v[28:29], 3, v[33:34]
	v_add_co_u32_e64 v48, s[4:5], v48, v28
	v_addc_co_u32_e64 v49, s[4:5], v49, v29, s[4:5]
	global_load_dwordx2 v[28:29], v[42:43], off
	global_load_dwordx2 v[30:31], v[44:45], off
	;; [unrolled: 1-line block ×4, first 2 shown]
.LBB0_17:
	s_or_b64 exec, exec, s[6:7]
	v_lshlrev_b32_e32 v42, 3, v41
	s_and_saveexec_b64 s[4:5], s[0:1]
	s_cbranch_execz .LBB0_19
; %bb.18:
	s_waitcnt vmcnt(5)
	v_sub_f32_e32 v3, v6, v26
	s_waitcnt vmcnt(1)
	v_sub_f32_e32 v34, v14, v34
	v_sub_f32_e32 v27, v7, v27
	;; [unrolled: 1-line block ×4, first 2 shown]
	v_fma_f32 v6, v6, 2.0, -v3
	v_fma_f32 v14, v14, 2.0, -v34
	v_add_f32_e32 v43, v27, v34
	v_sub_f32_e32 v48, v8, v22
	v_sub_f32_e32 v30, v16, v30
	;; [unrolled: 1-line block ×4, first 2 shown]
	v_fma_f32 v14, v5, 2.0, -v44
	v_fma_f32 v5, v13, 2.0, -v29
	v_sub_f32_e32 v28, v12, v28
	s_waitcnt vmcnt(0)
	v_sub_f32_e32 v33, v19, v33
	v_sub_f32_e32 v25, v11, v25
	;; [unrolled: 1-line block ×5, first 2 shown]
	v_fma_f32 v13, v8, 2.0, -v48
	v_fma_f32 v5, v16, 2.0, -v30
	v_add_f32_e32 v45, v44, v28
	v_sub_f32_e32 v24, v10, v24
	v_sub_f32_e32 v32, v18, v32
	v_add_f32_e32 v53, v52, v30
	v_sub_f32_e32 v30, v13, v5
	v_fma_f32 v59, v11, 2.0, -v25
	v_fma_f32 v5, v19, 2.0, -v33
	v_sub_f32_e32 v26, v15, v35
	v_mov_b32_e32 v46, v45
	v_sub_f32_e32 v31, v17, v31
	v_sub_f32_e32 v19, v59, v5
	v_fma_f32 v16, v10, 2.0, -v24
	v_fma_f32 v5, v18, 2.0, -v32
	v_sub_f32_e32 v35, v3, v26
	v_fmac_f32_e32 v46, 0x3f3504f3, v43
	v_sub_f32_e32 v49, v48, v31
	v_add_f32_e32 v51, v25, v32
	v_mov_b32_e32 v54, v53
	v_sub_f32_e32 v18, v16, v5
	v_fma_f32 v5, v17, 2.0, -v31
	v_fma_f32 v17, v4, 2.0, -v55
	;; [unrolled: 1-line block ×3, first 2 shown]
	v_fmac_f32_e32 v46, 0x3f3504f3, v35
	v_sub_f32_e32 v47, v24, v33
	v_mov_b32_e32 v50, v49
	v_fmac_f32_e32 v54, 0x3f3504f3, v51
	v_fma_f32 v32, v9, 2.0, -v52
	v_sub_f32_e32 v28, v17, v4
	v_fmac_f32_e32 v50, 0x3f3504f3, v47
	v_fmac_f32_e32 v54, 0x3f3504f3, v47
	v_mov_b32_e32 v57, v56
	v_sub_f32_e32 v31, v32, v5
	v_fma_f32 v64, v17, 2.0, -v28
	v_fma_f32 v17, v45, 2.0, -v46
	v_fmac_f32_e32 v50, 0xbf3504f3, v51
	v_fmac_f32_e32 v57, 0x3f3504f3, v35
	v_add_f32_e32 v60, v31, v18
	v_fma_f32 v61, v7, 2.0, -v27
	v_fma_f32 v4, v15, 2.0, -v26
	;; [unrolled: 1-line block ×6, first 2 shown]
	v_mov_b32_e32 v18, v17
	v_fmac_f32_e32 v57, 0xbf3504f3, v43
	v_sub_f32_e32 v15, v61, v4
	v_fma_f32 v3, v3, 2.0, -v35
	v_fma_f32 v35, v44, 2.0, -v45
	;; [unrolled: 1-line block ×4, first 2 shown]
	v_fmac_f32_e32 v18, 0xbec3ef15, v27
	v_add_f32_e32 v58, v29, v34
	v_sub_f32_e32 v26, v28, v15
	v_mov_b32_e32 v43, v35
	v_fma_f32 v44, v48, 2.0, -v49
	v_fma_f32 v48, v52, 2.0, -v53
	;; [unrolled: 1-line block ×5, first 2 shown]
	v_fmac_f32_e32 v18, 0x3f6c835e, v24
	v_fma_f32 v32, v56, 2.0, -v57
	v_sub_f32_e32 v33, v30, v19
	v_mov_b32_e32 v4, v26
	v_fmac_f32_e32 v43, 0xbf3504f3, v9
	v_fma_f32 v11, v25, 2.0, -v51
	v_mov_b32_e32 v55, v52
	v_fma_f32 v25, v17, 2.0, -v18
	v_mov_b32_e32 v17, v32
	v_fmac_f32_e32 v4, 0x3f3504f3, v33
	v_fmac_f32_e32 v43, 0x3f3504f3, v3
	;; [unrolled: 1-line block ×3, first 2 shown]
	v_fma_f32 v3, v14, 2.0, -v29
	v_fmac_f32_e32 v17, 0xbec3ef15, v24
	v_fma_f32 v29, v29, 2.0, -v58
	v_fmac_f32_e32 v4, 0xbf3504f3, v60
	v_mov_b32_e32 v51, v48
	v_fmac_f32_e32 v17, 0xbf6c835e, v27
	v_fma_f32 v31, v31, 2.0, -v60
	v_mov_b32_e32 v27, v29
	v_fma_f32 v28, v28, 2.0, -v26
	v_fma_f32 v7, v26, 2.0, -v4
	v_mov_b32_e32 v47, v44
	v_fmac_f32_e32 v51, 0xbf3504f3, v11
	v_fma_f32 v30, v30, 2.0, -v33
	v_fmac_f32_e32 v27, 0xbf3504f3, v31
	v_mov_b32_e32 v26, v28
	v_fmac_f32_e32 v47, 0xbf3504f3, v10
	v_fmac_f32_e32 v51, 0x3f3504f3, v10
	v_mov_b32_e32 v10, v43
	v_fmac_f32_e32 v27, 0x3f3504f3, v30
	v_fmac_f32_e32 v26, 0xbf3504f3, v30
	v_fma_f32 v30, v35, 2.0, -v43
	v_fmac_f32_e32 v47, 0xbf3504f3, v11
	v_fmac_f32_e32 v10, 0x3ec3ef15, v51
	;; [unrolled: 1-line block ×3, first 2 shown]
	v_fma_f32 v35, v48, 2.0, -v51
	v_mov_b32_e32 v31, v30
	v_mov_b32_e32 v5, v58
	v_fmac_f32_e32 v10, 0x3f6c835e, v47
	v_fmac_f32_e32 v55, 0xbf3504f3, v9
	v_fma_f32 v24, v32, 2.0, -v17
	v_fma_f32 v32, v44, 2.0, -v47
	v_fmac_f32_e32 v31, 0xbf6c835e, v35
	v_fmac_f32_e32 v5, 0x3f3504f3, v60
	v_fma_f32 v12, v43, 2.0, -v10
	v_fma_f32 v14, v61, 2.0, -v15
	v_sub_f32_e32 v63, v62, v13
	v_fma_f32 v13, v59, 2.0, -v19
	v_fmac_f32_e32 v31, 0x3ec3ef15, v32
	v_fma_f32 v43, v52, 2.0, -v55
	v_fmac_f32_e32 v5, 0x3f3504f3, v33
	v_sub_f32_e32 v61, v3, v14
	v_sub_f32_e32 v6, v64, v6
	;; [unrolled: 1-line block ×3, first 2 shown]
	v_fma_f32 v33, v30, 2.0, -v31
	v_mov_b32_e32 v30, v43
	v_sub_f32_e32 v13, v6, v19
	v_fmac_f32_e32 v30, 0xbf6c835e, v32
	v_fma_f32 v3, v3, 2.0, -v61
	v_fma_f32 v19, v34, 2.0, -v19
	v_fmac_f32_e32 v30, 0xbec3ef15, v35
	v_sub_f32_e32 v35, v3, v19
	v_fma_f32 v15, v6, 2.0, -v13
	v_fma_f32 v44, v3, 2.0, -v35
	v_fma_f32 v3, v64, 2.0, -v6
	v_fma_f32 v6, v62, 2.0, -v63
	v_mov_b32_e32 v21, v46
	v_mov_b32_e32 v20, v57
	;; [unrolled: 1-line block ×3, first 2 shown]
	v_sub_f32_e32 v34, v3, v6
	v_fmac_f32_e32 v21, 0x3f6c835e, v54
	v_fmac_f32_e32 v20, 0x3f6c835e, v50
	;; [unrolled: 1-line block ×3, first 2 shown]
	v_fma_f32 v32, v43, 2.0, -v30
	v_fma_f32 v43, v3, 2.0, -v34
	v_lshlrev_b32_e32 v3, 11, v36
	v_fmac_f32_e32 v21, 0x3ec3ef15, v50
	v_fmac_f32_e32 v20, 0xbec3ef15, v54
	;; [unrolled: 1-line block ×3, first 2 shown]
	v_add_f32_e32 v14, v61, v63
	v_add3_u32 v3, 0, v3, v42
	v_fma_f32 v23, v46, 2.0, -v21
	v_fma_f32 v22, v57, 2.0, -v20
	;; [unrolled: 1-line block ×7, first 2 shown]
	ds_write2_b64 v3, v[43:44], v[32:33] offset1:16
	ds_write2_b64 v3, v[28:29], v[24:25] offset0:32 offset1:48
	ds_write2_b64 v3, v[15:16], v[11:12] offset0:64 offset1:80
	;; [unrolled: 1-line block ×7, first 2 shown]
.LBB0_19:
	s_or_b64 exec, exec, s[4:5]
	s_or_b64 s[0:1], vcc, s[2:3]
	s_waitcnt vmcnt(0) lgkmcnt(0)
	s_barrier
	s_and_saveexec_b64 s[2:3], s[0:1]
	s_cbranch_execz .LBB0_21
; %bb.20:
	v_mul_u32_u24_e32 v3, 7, v36
	v_lshlrev_b32_e32 v3, 3, v3
	global_load_dwordx4 v[4:7], v3, s[20:21]
	global_load_dwordx4 v[8:11], v3, s[20:21] offset:32
	global_load_dwordx4 v[12:15], v3, s[20:21] offset:16
	global_load_dwordx2 v[32:33], v3, s[20:21] offset:48
	v_or_b32_e32 v3, 0x70, v36
	v_mul_lo_u32 v34, v3, v2
	v_lshlrev_b32_e32 v16, 7, v36
	v_add3_u32 v28, 0, v16, v42
	s_add_i32 s0, 0, 0x4000
	v_lshrrev_b32_e32 v35, 7, v34
	v_and_b32_e32 v42, 31, v34
	v_lshrrev_b32_e32 v34, 2, v34
	v_and_b32_e32 v35, 0xf8, v35
	v_and_b32_e32 v34, 0xf8, v34
	v_lshl_add_u32 v42, v42, 3, 0
	v_add_u32_e32 v35, s0, v35
	v_add_u32_e32 v44, s0, v34
	ds_read2st64_b64 v[16:19], v28 offset1:4
	ds_read2st64_b64 v[20:23], v28 offset0:16 offset1:20
	ds_read2st64_b64 v[24:27], v28 offset0:8 offset1:12
	;; [unrolled: 1-line block ×3, first 2 shown]
	ds_read_b64 v[34:35], v35 offset:512
	ds_read_b64 v[42:43], v42 offset:16384
	;; [unrolled: 1-line block ×3, first 2 shown]
	v_or_b32_e32 v48, 0x60, v36
	v_mul_lo_u32 v49, v48, v2
	s_waitcnt lgkmcnt(0)
	v_mul_f32_e32 v50, v43, v45
	v_mul_f32_e32 v45, v42, v45
	v_fma_f32 v42, v42, v44, -v50
	v_fmac_f32_e32 v45, v43, v44
	v_mul_f32_e32 v43, v45, v35
	v_mul_f32_e32 v35, v42, v35
	v_fma_f32 v42, v34, v42, -v43
	v_fmac_f32_e32 v35, v34, v45
	v_lshrrev_b32_e32 v46, 7, v49
	v_and_b32_e32 v46, 0xf8, v46
	v_add_u32_e32 v46, s0, v46
	ds_read_b64 v[46:47], v46 offset:512
	s_waitcnt vmcnt(3)
	v_mul_f32_e32 v34, v5, v19
	s_waitcnt vmcnt(2)
	v_mul_f32_e32 v43, v9, v23
	;; [unrolled: 2-line block ×3, first 2 shown]
	v_mul_f32_e32 v50, v15, v20
	v_mul_f32_e32 v51, v7, v25
	;; [unrolled: 1-line block ×6, first 2 shown]
	s_waitcnt vmcnt(0)
	v_mul_f32_e32 v13, v31, v33
	v_mul_f32_e32 v15, v15, v21
	;; [unrolled: 1-line block ×5, first 2 shown]
	v_fma_f32 v13, v30, v32, -v13
	v_fma_f32 v18, v4, v18, -v34
	;; [unrolled: 1-line block ×3, first 2 shown]
	v_fmac_f32_e32 v50, v14, v21
	v_fmac_f32_e32 v53, v4, v19
	v_fma_f32 v4, v14, v20, -v15
	v_fmac_f32_e32 v7, v6, v25
	v_fmac_f32_e32 v11, v29, v10
	v_mul_lo_u32 v30, v36, v2
	v_fma_f32 v21, v6, v24, -v51
	v_fma_f32 v24, v10, v28, -v52
	v_sub_f32_e32 v10, v18, v22
	v_sub_f32_e32 v15, v17, v50
	;; [unrolled: 1-line block ×5, first 2 shown]
	v_fma_f32 v17, v17, 2.0, -v15
	v_fma_f32 v6, v7, 2.0, -v6
	v_lshrrev_b32_e32 v7, 2, v49
	v_sub_f32_e32 v28, v17, v6
	v_and_b32_e32 v6, 31, v49
	v_and_b32_e32 v7, 0xf8, v7
	v_fmac_f32_e32 v5, v8, v23
	v_lshl_add_u32 v6, v6, 3, 0
	v_add_u32_e32 v7, s0, v7
	v_and_b32_e32 v8, 31, v30
	v_fmac_f32_e32 v45, v31, v32
	v_fmac_f32_e32 v44, v12, v27
	v_fma_f32 v12, v12, v26, -v9
	v_fma_f32 v29, v18, 2.0, -v10
	v_lshl_add_u32 v18, v8, 3, 0
	ds_read_b32 v31, v6 offset:16384
	ds_read_b64 v[6:7], v7 offset:256
	ds_read_b64 v[8:9], v18 offset:16384
	v_sub_f32_e32 v19, v21, v24
	v_sub_f32_e32 v14, v44, v45
	;; [unrolled: 1-line block ×4, first 2 shown]
	v_add_f32_e32 v23, v15, v19
	v_sub_f32_e32 v11, v10, v14
	v_add_f32_e32 v24, v20, v13
	v_mov_b32_e32 v26, v23
	v_mov_b32_e32 v27, v25
	v_fma_f32 v12, v12, 2.0, -v13
	v_fmac_f32_e32 v26, 0x3f3504f3, v24
	v_fmac_f32_e32 v27, 0x3f3504f3, v11
	v_sub_f32_e32 v32, v29, v12
	s_waitcnt lgkmcnt(0)
	v_mul_f32_e32 v12, v9, v7
	v_mul_f32_e32 v7, v31, v7
	v_fmac_f32_e32 v26, 0x3f3504f3, v11
	v_fmac_f32_e32 v27, 0xbf3504f3, v24
	v_fma_f32 v12, v31, v6, -v12
	v_fmac_f32_e32 v7, v9, v6
	v_fma_f32 v31, v16, 2.0, -v22
	v_fma_f32 v9, v21, 2.0, -v19
	v_mul_f32_e32 v5, v27, v35
	v_mul_f32_e32 v4, v26, v35
	v_sub_f32_e32 v35, v31, v9
	v_fma_f32 v16, v53, 2.0, -v20
	v_fma_f32 v9, v44, 2.0, -v14
	ds_read_b32 v34, v18 offset:16388
	v_sub_f32_e32 v18, v16, v9
	v_mul_f32_e32 v9, v12, v47
	v_fmac_f32_e32 v5, v26, v42
	v_fma_f32 v4, v27, v42, -v4
	v_add_f32_e32 v33, v28, v32
	v_mul_f32_e32 v6, v7, v47
	v_sub_f32_e32 v42, v35, v18
	v_fmac_f32_e32 v9, v46, v7
	v_fma_f32 v6, v46, v12, -v6
	v_mul_f32_e32 v7, v42, v9
	v_mul_f32_e32 v9, v33, v9
	v_fmac_f32_e32 v7, v33, v6
	v_fma_f32 v6, v42, v6, -v9
	v_lshlrev_b32_e32 v9, 4, v2
	v_fma_f32 v19, v10, 2.0, -v11
	v_sub_u32_e32 v10, v49, v9
	v_fma_f32 v43, v15, 2.0, -v23
	v_lshrrev_b32_e32 v11, 7, v10
	v_and_b32_e32 v12, 31, v10
	v_lshrrev_b32_e32 v13, 2, v10
	v_sub_u32_e32 v15, v10, v9
	v_lshlrev_b32_e32 v10, 5, v2
	v_sub_u32_e32 v44, v15, v10
	v_and_b32_e32 v11, 0xf8, v11
	v_and_b32_e32 v13, 0xf8, v13
	v_sub_u32_e32 v45, v44, v9
	v_add_u32_e32 v11, s0, v11
	v_lshl_add_u32 v12, v12, 3, 0
	v_add_u32_e32 v13, s0, v13
	v_and_b32_e32 v9, 31, v45
	v_lshl_add_u32 v21, v9, 3, 0
	ds_read_b64 v[9:10], v11 offset:512
	ds_read_b32 v46, v12 offset:16384
	ds_read_b64 v[11:12], v13 offset:256
	ds_read_b64 v[13:14], v21 offset:16384
	v_fma_f32 v20, v20, 2.0, -v24
	v_mov_b32_e32 v24, v43
	v_fmac_f32_e32 v24, 0xbf3504f3, v20
	v_fmac_f32_e32 v24, 0x3f3504f3, v19
	s_waitcnt lgkmcnt(0)
	v_mul_f32_e32 v47, v14, v12
	v_fma_f32 v47, v46, v11, -v47
	v_mul_f32_e32 v12, v46, v12
	v_fma_f32 v46, v22, 2.0, -v25
	v_mov_b32_e32 v49, v46
	v_fmac_f32_e32 v12, v14, v11
	v_fmac_f32_e32 v49, 0xbf3504f3, v19
	v_mul_f32_e32 v14, v47, v10
	v_mul_f32_e32 v11, v12, v10
	v_fmac_f32_e32 v49, 0xbf3504f3, v20
	v_fmac_f32_e32 v14, v9, v12
	v_fma_f32 v11, v9, v47, -v11
	v_mul_f32_e32 v10, v49, v14
	v_mul_f32_e32 v9, v24, v14
	v_fmac_f32_e32 v10, v24, v11
	v_fma_f32 v9, v49, v11, -v9
	v_fma_f32 v47, v17, 2.0, -v28
	v_fma_f32 v11, v16, 2.0, -v18
	v_sub_f32_e32 v50, v47, v11
	v_lshrrev_b32_e32 v11, 7, v15
	v_and_b32_e32 v11, 0xf8, v11
	v_add_u32_e32 v14, s0, v11
	v_and_b32_e32 v11, 31, v15
	v_lshrrev_b32_e32 v12, 2, v15
	v_lshl_add_u32 v11, v11, 3, 0
	v_and_b32_e32 v12, 0xf8, v12
	v_add_u32_e32 v16, s0, v12
	v_add_u32_e32 v11, 0x4000, v11
	ds_read2_b32 v[11:12], v11 offset1:1
	ds_read_b32 v51, v21 offset:16388
	ds_read_b64 v[14:15], v14 offset:512
	ds_read_b64 v[16:17], v16 offset:256
	v_mul_lo_u32 v2, v38, v2
	v_fma_f32 v31, v31, 2.0, -v35
	v_lshrrev_b32_e32 v21, 2, v44
	v_fma_f32 v26, v23, 2.0, -v26
	s_waitcnt lgkmcnt(0)
	v_mul_f32_e32 v20, v12, v17
	v_fma_f32 v20, v11, v16, -v20
	v_mul_f32_e32 v11, v11, v17
	v_fmac_f32_e32 v11, v12, v16
	v_mul_f32_e32 v12, v11, v15
	v_fma_f32 v16, v14, v20, -v12
	v_fma_f32 v12, v29, 2.0, -v32
	v_mul_f32_e32 v15, v20, v15
	v_lshrrev_b32_e32 v18, 7, v2
	v_sub_f32_e32 v29, v31, v12
	v_fmac_f32_e32 v15, v14, v11
	v_and_b32_e32 v18, 0xf8, v18
	v_mul_f32_e32 v12, v29, v15
	v_mul_f32_e32 v11, v50, v15
	v_and_b32_e32 v14, 31, v2
	v_lshrrev_b32_e32 v2, 2, v2
	v_lshrrev_b32_e32 v15, 7, v44
	v_add_u32_e32 v18, s0, v18
	v_lshl_add_u32 v14, v14, 3, 0
	v_and_b32_e32 v2, 0xf8, v2
	v_and_b32_e32 v15, 0xf8, v15
	ds_read_b64 v[18:19], v18 offset:512
	v_fmac_f32_e32 v12, v50, v16
	v_fma_f32 v11, v29, v16, -v11
	v_add_u32_e32 v2, s0, v2
	v_add_u32_e32 v20, s0, v15
	ds_read_b64 v[14:15], v14 offset:16384
	ds_read_b64 v[16:17], v2 offset:256
	v_and_b32_e32 v2, 0xf8, v21
	v_add_u32_e32 v2, s0, v2
	ds_read_b64 v[20:21], v20 offset:512
	ds_read_b64 v[22:23], v2 offset:256
	v_fma_f32 v25, v25, 2.0, -v27
	s_waitcnt lgkmcnt(2)
	v_mul_f32_e32 v2, v15, v17
	v_fma_f32 v2, v14, v16, -v2
	v_mul_f32_e32 v14, v14, v17
	v_fmac_f32_e32 v14, v15, v16
	v_mul_f32_e32 v15, v14, v19
	v_fma_f32 v32, v18, v2, -v15
	v_mul_f32_e32 v2, v2, v19
	v_fmac_f32_e32 v2, v18, v14
	v_and_b32_e32 v14, 31, v44
	v_lshl_add_u32 v14, v14, 3, 0
	v_add_u32_e32 v14, 0x4000, v14
	ds_read2_b32 v[16:17], v14 offset1:1
	v_mul_f32_e32 v15, v25, v2
	v_mul_f32_e32 v2, v26, v2
	v_fma_f32 v14, v25, v32, -v2
	v_fma_f32 v2, v28, 2.0, -v33
	s_waitcnt lgkmcnt(0)
	v_mul_f32_e32 v18, v17, v23
	v_fma_f32 v18, v16, v22, -v18
	v_mul_f32_e32 v16, v16, v23
	v_fmac_f32_e32 v16, v17, v22
	v_mul_f32_e32 v17, v16, v21
	v_fma_f32 v19, v20, v18, -v17
	v_mul_f32_e32 v18, v18, v21
	v_fma_f32 v22, v35, 2.0, -v42
	v_fmac_f32_e32 v18, v20, v16
	v_mul_f32_e32 v17, v22, v18
	v_fmac_f32_e32 v17, v2, v19
	v_mul_f32_e32 v2, v2, v18
	v_fma_f32 v16, v22, v19, -v2
	v_lshrrev_b32_e32 v19, 2, v45
	v_lshrrev_b32_e32 v18, 7, v45
	v_and_b32_e32 v19, 0xf8, v19
	v_and_b32_e32 v18, 0xf8, v18
	v_add_u32_e32 v20, s0, v19
	v_lshrrev_b32_e32 v19, 7, v30
	v_add_u32_e32 v18, s0, v18
	v_and_b32_e32 v19, 0xf8, v19
	v_add_u32_e32 v22, s0, v19
	ds_read_b64 v[18:19], v18 offset:512
	ds_read_b64 v[20:21], v20 offset:256
	v_fmac_f32_e32 v15, v26, v32
	v_lshrrev_b32_e32 v23, 2, v30
	v_and_b32_e32 v23, 0xf8, v23
	v_fma_f32 v2, v43, 2.0, -v24
	s_waitcnt lgkmcnt(0)
	v_mul_f32_e32 v26, v51, v21
	v_fma_f32 v26, v13, v20, -v26
	v_mul_f32_e32 v13, v13, v21
	v_add_u32_e32 v24, s0, v23
	v_fmac_f32_e32 v13, v51, v20
	ds_read_b64 v[22:23], v22 offset:512
	ds_read_b64 v[24:25], v24 offset:256
	v_mul_f32_e32 v20, v13, v19
	v_fma_f32 v20, v18, v26, -v20
	v_mul_f32_e32 v26, v26, v19
	v_fma_f32 v21, v46, 2.0, -v49
	v_fmac_f32_e32 v26, v18, v13
	v_mul_f32_e32 v19, v21, v26
	v_fmac_f32_e32 v19, v2, v20
	v_mul_f32_e32 v2, v2, v26
	v_fma_f32 v18, v21, v20, -v2
	s_waitcnt lgkmcnt(0)
	v_mul_f32_e32 v2, v34, v25
	v_fma_f32 v2, v8, v24, -v2
	v_mul_f32_e32 v8, v8, v25
	v_fmac_f32_e32 v8, v34, v24
	v_mul_f32_e32 v20, v8, v23
	v_mul_f32_e32 v30, v2, v23
	v_fma_f32 v20, v22, v2, -v20
	v_fmac_f32_e32 v30, v22, v8
	v_mad_u64_u32 v[22:23], s[0:1], s18, v41, 0
	v_mad_u64_u32 v[24:25], s[0:1], s16, v36, 0
	v_mov_b32_e32 v2, v23
	v_mad_u64_u32 v[26:27], s[0:1], s19, v41, v[2:3]
	v_fma_f32 v13, v47, 2.0, -v50
	v_fma_f32 v29, v31, 2.0, -v29
	v_mov_b32_e32 v2, v25
	v_mul_f32_e32 v21, v29, v30
	v_mad_u64_u32 v[27:28], s[0:1], s17, v36, v[2:3]
	v_mul_f32_e32 v2, v13, v30
	v_fmac_f32_e32 v21, v13, v20
	v_fma_f32 v20, v29, v20, -v2
	v_mov_b32_e32 v23, v26
	v_mov_b32_e32 v2, s9
	v_add_co_u32_e32 v8, vcc, s8, v0
	v_addc_co_u32_e32 v2, vcc, v2, v1, vcc
	v_lshlrev_b64 v[0:1], 3, v[22:23]
	v_mov_b32_e32 v25, v27
	v_add_co_u32_e32 v8, vcc, v8, v0
	v_mad_u64_u32 v[22:23], s[0:1], s16, v40, 0
	v_addc_co_u32_e32 v26, vcc, v2, v1, vcc
	v_lshlrev_b64 v[0:1], 3, v[24:25]
	v_mov_b32_e32 v2, v23
	v_add_co_u32_e32 v0, vcc, v8, v0
	v_addc_co_u32_e32 v1, vcc, v26, v1, vcc
	global_store_dwordx2 v[0:1], v[20:21], off
	v_mad_u64_u32 v[20:21], s[0:1], s16, v39, 0
	v_mad_u64_u32 v[23:24], s[0:1], s17, v40, v[2:3]
	v_mov_b32_e32 v2, v21
	v_or_b32_e32 v13, 0x50, v36
	v_lshlrev_b64 v[0:1], 3, v[22:23]
	v_mad_u64_u32 v[21:22], s[0:1], s17, v39, v[2:3]
	v_add_co_u32_e32 v0, vcc, v8, v0
	v_addc_co_u32_e32 v1, vcc, v26, v1, vcc
	v_mad_u64_u32 v[22:23], s[0:1], s16, v38, 0
	global_store_dwordx2 v[0:1], v[18:19], off
	v_lshlrev_b64 v[0:1], 3, v[20:21]
	v_mov_b32_e32 v2, v23
	v_add_co_u32_e32 v0, vcc, v8, v0
	v_addc_co_u32_e32 v1, vcc, v26, v1, vcc
	v_mad_u64_u32 v[18:19], s[0:1], s17, v38, v[2:3]
	global_store_dwordx2 v[0:1], v[16:17], off
	v_mad_u64_u32 v[16:17], s[0:1], s16, v37, 0
	v_mov_b32_e32 v23, v18
	v_lshlrev_b64 v[0:1], 3, v[22:23]
	v_mov_b32_e32 v2, v17
	v_mad_u64_u32 v[17:18], s[0:1], s17, v37, v[2:3]
	v_add_co_u32_e32 v0, vcc, v8, v0
	v_addc_co_u32_e32 v1, vcc, v26, v1, vcc
	v_mad_u64_u32 v[18:19], s[0:1], s16, v13, 0
	global_store_dwordx2 v[0:1], v[14:15], off
	v_lshlrev_b64 v[0:1], 3, v[16:17]
	v_mov_b32_e32 v2, v19
	v_add_co_u32_e32 v0, vcc, v8, v0
	v_addc_co_u32_e32 v1, vcc, v26, v1, vcc
	global_store_dwordx2 v[0:1], v[11:12], off
	v_mad_u64_u32 v[11:12], s[0:1], s16, v48, 0
	v_mad_u64_u32 v[13:14], s[0:1], s17, v13, v[2:3]
	v_mov_b32_e32 v2, v12
	v_mov_b32_e32 v19, v13
	v_mad_u64_u32 v[12:13], s[0:1], s17, v48, v[2:3]
	v_mad_u64_u32 v[13:14], s[0:1], s16, v3, 0
	v_lshlrev_b64 v[0:1], 3, v[18:19]
	v_add_co_u32_e32 v0, vcc, v8, v0
	v_mov_b32_e32 v2, v14
	v_addc_co_u32_e32 v1, vcc, v26, v1, vcc
	v_mad_u64_u32 v[2:3], s[0:1], s17, v3, v[2:3]
	global_store_dwordx2 v[0:1], v[9:10], off
	v_lshlrev_b64 v[0:1], 3, v[11:12]
	v_mov_b32_e32 v14, v2
	v_add_co_u32_e32 v0, vcc, v8, v0
	v_addc_co_u32_e32 v1, vcc, v26, v1, vcc
	global_store_dwordx2 v[0:1], v[6:7], off
	v_lshlrev_b64 v[0:1], 3, v[13:14]
	v_add_co_u32_e32 v0, vcc, v8, v0
	v_addc_co_u32_e32 v1, vcc, v26, v1, vcc
	global_store_dwordx2 v[0:1], v[4:5], off
.LBB0_21:
	s_endpgm
	.section	.rodata,"a",@progbits
	.p2align	6, 0x0
	.amdhsa_kernel fft_rtc_fwd_len128_factors_16_8_wgs_256_tpt_16_sp_ip_CI_sbcc_twdbase5_3step_dirReg
		.amdhsa_group_segment_fixed_size 0
		.amdhsa_private_segment_fixed_size 0
		.amdhsa_kernarg_size 96
		.amdhsa_user_sgpr_count 6
		.amdhsa_user_sgpr_private_segment_buffer 1
		.amdhsa_user_sgpr_dispatch_ptr 0
		.amdhsa_user_sgpr_queue_ptr 0
		.amdhsa_user_sgpr_kernarg_segment_ptr 1
		.amdhsa_user_sgpr_dispatch_id 0
		.amdhsa_user_sgpr_flat_scratch_init 0
		.amdhsa_user_sgpr_private_segment_size 0
		.amdhsa_uses_dynamic_stack 0
		.amdhsa_system_sgpr_private_segment_wavefront_offset 0
		.amdhsa_system_sgpr_workgroup_id_x 1
		.amdhsa_system_sgpr_workgroup_id_y 0
		.amdhsa_system_sgpr_workgroup_id_z 0
		.amdhsa_system_sgpr_workgroup_info 0
		.amdhsa_system_vgpr_workitem_id 0
		.amdhsa_next_free_vgpr 65
		.amdhsa_next_free_sgpr 41
		.amdhsa_reserve_vcc 1
		.amdhsa_reserve_flat_scratch 0
		.amdhsa_float_round_mode_32 0
		.amdhsa_float_round_mode_16_64 0
		.amdhsa_float_denorm_mode_32 3
		.amdhsa_float_denorm_mode_16_64 3
		.amdhsa_dx10_clamp 1
		.amdhsa_ieee_mode 1
		.amdhsa_fp16_overflow 0
		.amdhsa_exception_fp_ieee_invalid_op 0
		.amdhsa_exception_fp_denorm_src 0
		.amdhsa_exception_fp_ieee_div_zero 0
		.amdhsa_exception_fp_ieee_overflow 0
		.amdhsa_exception_fp_ieee_underflow 0
		.amdhsa_exception_fp_ieee_inexact 0
		.amdhsa_exception_int_div_zero 0
	.end_amdhsa_kernel
	.text
.Lfunc_end0:
	.size	fft_rtc_fwd_len128_factors_16_8_wgs_256_tpt_16_sp_ip_CI_sbcc_twdbase5_3step_dirReg, .Lfunc_end0-fft_rtc_fwd_len128_factors_16_8_wgs_256_tpt_16_sp_ip_CI_sbcc_twdbase5_3step_dirReg
                                        ; -- End function
	.section	.AMDGPU.csdata,"",@progbits
; Kernel info:
; codeLenInByte = 6816
; NumSgprs: 45
; NumVgprs: 65
; ScratchSize: 0
; MemoryBound: 0
; FloatMode: 240
; IeeeMode: 1
; LDSByteSize: 0 bytes/workgroup (compile time only)
; SGPRBlocks: 5
; VGPRBlocks: 16
; NumSGPRsForWavesPerEU: 45
; NumVGPRsForWavesPerEU: 65
; Occupancy: 3
; WaveLimiterHint : 1
; COMPUTE_PGM_RSRC2:SCRATCH_EN: 0
; COMPUTE_PGM_RSRC2:USER_SGPR: 6
; COMPUTE_PGM_RSRC2:TRAP_HANDLER: 0
; COMPUTE_PGM_RSRC2:TGID_X_EN: 1
; COMPUTE_PGM_RSRC2:TGID_Y_EN: 0
; COMPUTE_PGM_RSRC2:TGID_Z_EN: 0
; COMPUTE_PGM_RSRC2:TIDIG_COMP_CNT: 0
	.type	__hip_cuid_925e1245abdac1e1,@object ; @__hip_cuid_925e1245abdac1e1
	.section	.bss,"aw",@nobits
	.globl	__hip_cuid_925e1245abdac1e1
__hip_cuid_925e1245abdac1e1:
	.byte	0                               ; 0x0
	.size	__hip_cuid_925e1245abdac1e1, 1

	.ident	"AMD clang version 19.0.0git (https://github.com/RadeonOpenCompute/llvm-project roc-6.4.0 25133 c7fe45cf4b819c5991fe208aaa96edf142730f1d)"
	.section	".note.GNU-stack","",@progbits
	.addrsig
	.addrsig_sym __hip_cuid_925e1245abdac1e1
	.amdgpu_metadata
---
amdhsa.kernels:
  - .args:
      - .actual_access:  read_only
        .address_space:  global
        .offset:         0
        .size:           8
        .value_kind:     global_buffer
      - .address_space:  global
        .offset:         8
        .size:           8
        .value_kind:     global_buffer
      - .offset:         16
        .size:           8
        .value_kind:     by_value
      - .actual_access:  read_only
        .address_space:  global
        .offset:         24
        .size:           8
        .value_kind:     global_buffer
      - .actual_access:  read_only
        .address_space:  global
        .offset:         32
        .size:           8
        .value_kind:     global_buffer
      - .offset:         40
        .size:           8
        .value_kind:     by_value
      - .actual_access:  read_only
        .address_space:  global
        .offset:         48
        .size:           8
        .value_kind:     global_buffer
      - .actual_access:  read_only
        .address_space:  global
        .offset:         56
        .size:           8
        .value_kind:     global_buffer
      - .offset:         64
        .size:           4
        .value_kind:     by_value
      - .actual_access:  read_only
        .address_space:  global
        .offset:         72
        .size:           8
        .value_kind:     global_buffer
      - .actual_access:  read_only
        .address_space:  global
        .offset:         80
        .size:           8
        .value_kind:     global_buffer
      - .address_space:  global
        .offset:         88
        .size:           8
        .value_kind:     global_buffer
    .group_segment_fixed_size: 0
    .kernarg_segment_align: 8
    .kernarg_segment_size: 96
    .language:       OpenCL C
    .language_version:
      - 2
      - 0
    .max_flat_workgroup_size: 256
    .name:           fft_rtc_fwd_len128_factors_16_8_wgs_256_tpt_16_sp_ip_CI_sbcc_twdbase5_3step_dirReg
    .private_segment_fixed_size: 0
    .sgpr_count:     45
    .sgpr_spill_count: 0
    .symbol:         fft_rtc_fwd_len128_factors_16_8_wgs_256_tpt_16_sp_ip_CI_sbcc_twdbase5_3step_dirReg.kd
    .uniform_work_group_size: 1
    .uses_dynamic_stack: false
    .vgpr_count:     65
    .vgpr_spill_count: 0
    .wavefront_size: 64
amdhsa.target:   amdgcn-amd-amdhsa--gfx906
amdhsa.version:
  - 1
  - 2
...

	.end_amdgpu_metadata
